;; amdgpu-corpus repo=ROCm/rocFFT kind=compiled arch=gfx1030 opt=O3
	.text
	.amdgcn_target "amdgcn-amd-amdhsa--gfx1030"
	.amdhsa_code_object_version 6
	.protected	fft_rtc_back_len4096_factors_16_16_16_wgs_256_tpt_256_halfLds_sp_op_CI_CI_unitstride_sbrr_dirReg ; -- Begin function fft_rtc_back_len4096_factors_16_16_16_wgs_256_tpt_256_halfLds_sp_op_CI_CI_unitstride_sbrr_dirReg
	.globl	fft_rtc_back_len4096_factors_16_16_16_wgs_256_tpt_256_halfLds_sp_op_CI_CI_unitstride_sbrr_dirReg
	.p2align	8
	.type	fft_rtc_back_len4096_factors_16_16_16_wgs_256_tpt_256_halfLds_sp_op_CI_CI_unitstride_sbrr_dirReg,@function
fft_rtc_back_len4096_factors_16_16_16_wgs_256_tpt_256_halfLds_sp_op_CI_CI_unitstride_sbrr_dirReg: ; @fft_rtc_back_len4096_factors_16_16_16_wgs_256_tpt_256_halfLds_sp_op_CI_CI_unitstride_sbrr_dirReg
; %bb.0:
	s_clause 0x2
	s_load_dwordx4 s[12:15], s[4:5], 0x0
	s_load_dwordx4 s[8:11], s[4:5], 0x58
	;; [unrolled: 1-line block ×3, first 2 shown]
	v_mov_b32_e32 v3, 0
	v_mov_b32_e32 v6, 0
	v_mov_b32_e32 v8, s6
	v_mov_b32_e32 v7, 0
	v_mov_b32_e32 v9, v3
	s_waitcnt lgkmcnt(0)
	v_cmp_lt_u64_e64 s0, s[14:15], 2
	s_and_b32 vcc_lo, exec_lo, s0
	s_cbranch_vccnz .LBB0_8
; %bb.1:
	s_load_dwordx2 s[0:1], s[4:5], 0x10
	v_mov_b32_e32 v6, 0
	v_mov_b32_e32 v7, 0
	s_add_u32 s2, s18, 8
	s_addc_u32 s3, s19, 0
	v_mov_b32_e32 v1, v6
	s_add_u32 s6, s16, 8
	v_mov_b32_e32 v2, v7
	s_addc_u32 s7, s17, 0
	s_mov_b64 s[22:23], 1
	s_waitcnt lgkmcnt(0)
	s_add_u32 s20, s0, 8
	s_addc_u32 s21, s1, 0
.LBB0_2:                                ; =>This Inner Loop Header: Depth=1
	s_load_dwordx2 s[24:25], s[20:21], 0x0
	s_waitcnt lgkmcnt(0)
	v_or_b32_e32 v4, s25, v9
	v_cmp_ne_u64_e32 vcc_lo, 0, v[3:4]
                                        ; implicit-def: $vgpr4_vgpr5
	s_and_saveexec_b32 s0, vcc_lo
	s_xor_b32 s1, exec_lo, s0
	s_cbranch_execz .LBB0_4
; %bb.3:                                ;   in Loop: Header=BB0_2 Depth=1
	v_cvt_f32_u32_e32 v4, s24
	v_cvt_f32_u32_e32 v5, s25
	s_sub_u32 s0, 0, s24
	s_subb_u32 s26, 0, s25
	v_fmac_f32_e32 v4, 0x4f800000, v5
	v_rcp_f32_e32 v4, v4
	v_mul_f32_e32 v4, 0x5f7ffffc, v4
	v_mul_f32_e32 v5, 0x2f800000, v4
	v_trunc_f32_e32 v5, v5
	v_fmac_f32_e32 v4, 0xcf800000, v5
	v_cvt_u32_f32_e32 v5, v5
	v_cvt_u32_f32_e32 v4, v4
	v_mul_lo_u32 v10, s0, v5
	v_mul_hi_u32 v11, s0, v4
	v_mul_lo_u32 v12, s26, v4
	v_add_nc_u32_e32 v10, v11, v10
	v_mul_lo_u32 v11, s0, v4
	v_add_nc_u32_e32 v10, v10, v12
	v_mul_hi_u32 v12, v4, v11
	v_mul_lo_u32 v13, v4, v10
	v_mul_hi_u32 v14, v4, v10
	v_mul_hi_u32 v15, v5, v11
	v_mul_lo_u32 v11, v5, v11
	v_mul_hi_u32 v16, v5, v10
	v_mul_lo_u32 v10, v5, v10
	v_add_co_u32 v12, vcc_lo, v12, v13
	v_add_co_ci_u32_e32 v13, vcc_lo, 0, v14, vcc_lo
	v_add_co_u32 v11, vcc_lo, v12, v11
	v_add_co_ci_u32_e32 v11, vcc_lo, v13, v15, vcc_lo
	v_add_co_ci_u32_e32 v12, vcc_lo, 0, v16, vcc_lo
	v_add_co_u32 v10, vcc_lo, v11, v10
	v_add_co_ci_u32_e32 v11, vcc_lo, 0, v12, vcc_lo
	v_add_co_u32 v4, vcc_lo, v4, v10
	v_add_co_ci_u32_e32 v5, vcc_lo, v5, v11, vcc_lo
	v_mul_hi_u32 v10, s0, v4
	v_mul_lo_u32 v12, s26, v4
	v_mul_lo_u32 v11, s0, v5
	v_add_nc_u32_e32 v10, v10, v11
	v_mul_lo_u32 v11, s0, v4
	v_add_nc_u32_e32 v10, v10, v12
	v_mul_hi_u32 v12, v4, v11
	v_mul_lo_u32 v13, v4, v10
	v_mul_hi_u32 v14, v4, v10
	v_mul_hi_u32 v15, v5, v11
	v_mul_lo_u32 v11, v5, v11
	v_mul_hi_u32 v16, v5, v10
	v_mul_lo_u32 v10, v5, v10
	v_add_co_u32 v12, vcc_lo, v12, v13
	v_add_co_ci_u32_e32 v13, vcc_lo, 0, v14, vcc_lo
	v_add_co_u32 v11, vcc_lo, v12, v11
	v_add_co_ci_u32_e32 v11, vcc_lo, v13, v15, vcc_lo
	v_add_co_ci_u32_e32 v12, vcc_lo, 0, v16, vcc_lo
	v_add_co_u32 v10, vcc_lo, v11, v10
	v_add_co_ci_u32_e32 v11, vcc_lo, 0, v12, vcc_lo
	v_add_co_u32 v10, vcc_lo, v4, v10
	v_add_co_ci_u32_e32 v12, vcc_lo, v5, v11, vcc_lo
	v_mul_hi_u32 v14, v8, v10
	v_mad_u64_u32 v[10:11], null, v9, v10, 0
	v_mad_u64_u32 v[4:5], null, v8, v12, 0
	;; [unrolled: 1-line block ×3, first 2 shown]
	v_add_co_u32 v4, vcc_lo, v14, v4
	v_add_co_ci_u32_e32 v5, vcc_lo, 0, v5, vcc_lo
	v_add_co_u32 v4, vcc_lo, v4, v10
	v_add_co_ci_u32_e32 v4, vcc_lo, v5, v11, vcc_lo
	v_add_co_ci_u32_e32 v5, vcc_lo, 0, v13, vcc_lo
	v_add_co_u32 v10, vcc_lo, v4, v12
	v_add_co_ci_u32_e32 v11, vcc_lo, 0, v5, vcc_lo
	v_mul_lo_u32 v12, s25, v10
	v_mad_u64_u32 v[4:5], null, s24, v10, 0
	v_mul_lo_u32 v13, s24, v11
	v_sub_co_u32 v4, vcc_lo, v8, v4
	v_add3_u32 v5, v5, v13, v12
	v_sub_nc_u32_e32 v12, v9, v5
	v_subrev_co_ci_u32_e64 v12, s0, s25, v12, vcc_lo
	v_add_co_u32 v13, s0, v10, 2
	v_add_co_ci_u32_e64 v14, s0, 0, v11, s0
	v_sub_co_u32 v15, s0, v4, s24
	v_sub_co_ci_u32_e32 v5, vcc_lo, v9, v5, vcc_lo
	v_subrev_co_ci_u32_e64 v12, s0, 0, v12, s0
	v_cmp_le_u32_e32 vcc_lo, s24, v15
	v_cmp_eq_u32_e64 s0, s25, v5
	v_cndmask_b32_e64 v15, 0, -1, vcc_lo
	v_cmp_le_u32_e32 vcc_lo, s25, v12
	v_cndmask_b32_e64 v16, 0, -1, vcc_lo
	v_cmp_le_u32_e32 vcc_lo, s24, v4
	;; [unrolled: 2-line block ×3, first 2 shown]
	v_cndmask_b32_e64 v17, 0, -1, vcc_lo
	v_cmp_eq_u32_e32 vcc_lo, s25, v12
	v_cndmask_b32_e64 v4, v17, v4, s0
	v_cndmask_b32_e32 v12, v16, v15, vcc_lo
	v_add_co_u32 v15, vcc_lo, v10, 1
	v_add_co_ci_u32_e32 v16, vcc_lo, 0, v11, vcc_lo
	v_cmp_ne_u32_e32 vcc_lo, 0, v12
	v_cndmask_b32_e32 v5, v16, v14, vcc_lo
	v_cndmask_b32_e32 v12, v15, v13, vcc_lo
	v_cmp_ne_u32_e32 vcc_lo, 0, v4
	v_cndmask_b32_e32 v5, v11, v5, vcc_lo
	v_cndmask_b32_e32 v4, v10, v12, vcc_lo
.LBB0_4:                                ;   in Loop: Header=BB0_2 Depth=1
	s_andn2_saveexec_b32 s0, s1
	s_cbranch_execz .LBB0_6
; %bb.5:                                ;   in Loop: Header=BB0_2 Depth=1
	v_cvt_f32_u32_e32 v4, s24
	s_sub_i32 s1, 0, s24
	v_rcp_iflag_f32_e32 v4, v4
	v_mul_f32_e32 v4, 0x4f7ffffe, v4
	v_cvt_u32_f32_e32 v4, v4
	v_mul_lo_u32 v5, s1, v4
	v_mul_hi_u32 v5, v4, v5
	v_add_nc_u32_e32 v4, v4, v5
	v_mul_hi_u32 v4, v8, v4
	v_mul_lo_u32 v5, v4, s24
	v_add_nc_u32_e32 v10, 1, v4
	v_sub_nc_u32_e32 v5, v8, v5
	v_subrev_nc_u32_e32 v11, s24, v5
	v_cmp_le_u32_e32 vcc_lo, s24, v5
	v_cndmask_b32_e32 v5, v5, v11, vcc_lo
	v_cndmask_b32_e32 v4, v4, v10, vcc_lo
	v_cmp_le_u32_e32 vcc_lo, s24, v5
	v_add_nc_u32_e32 v10, 1, v4
	v_mov_b32_e32 v5, v3
	v_cndmask_b32_e32 v4, v4, v10, vcc_lo
.LBB0_6:                                ;   in Loop: Header=BB0_2 Depth=1
	s_or_b32 exec_lo, exec_lo, s0
	v_mul_lo_u32 v12, v5, s24
	v_mul_lo_u32 v13, v4, s25
	s_load_dwordx2 s[0:1], s[6:7], 0x0
	v_mad_u64_u32 v[10:11], null, v4, s24, 0
	s_load_dwordx2 s[24:25], s[2:3], 0x0
	s_add_u32 s22, s22, 1
	s_addc_u32 s23, s23, 0
	s_add_u32 s2, s2, 8
	s_addc_u32 s3, s3, 0
	s_add_u32 s6, s6, 8
	v_add3_u32 v11, v11, v13, v12
	v_sub_co_u32 v8, vcc_lo, v8, v10
	s_addc_u32 s7, s7, 0
	s_add_u32 s20, s20, 8
	v_sub_co_ci_u32_e32 v9, vcc_lo, v9, v11, vcc_lo
	s_addc_u32 s21, s21, 0
	s_waitcnt lgkmcnt(0)
	v_mul_lo_u32 v10, s0, v9
	v_mul_lo_u32 v11, s1, v8
	v_mad_u64_u32 v[6:7], null, s0, v8, v[6:7]
	v_mul_lo_u32 v9, s24, v9
	v_mul_lo_u32 v12, s25, v8
	v_mad_u64_u32 v[1:2], null, s24, v8, v[1:2]
	v_cmp_ge_u64_e64 s0, s[22:23], s[14:15]
	v_add3_u32 v7, v11, v7, v10
	v_add3_u32 v2, v12, v2, v9
	s_and_b32 vcc_lo, exec_lo, s0
	s_cbranch_vccnz .LBB0_9
; %bb.7:                                ;   in Loop: Header=BB0_2 Depth=1
	v_mov_b32_e32 v9, v5
	v_mov_b32_e32 v8, v4
	s_branch .LBB0_2
.LBB0_8:
	v_mov_b32_e32 v1, v6
	v_mov_b32_e32 v4, v8
	;; [unrolled: 1-line block ×4, first 2 shown]
.LBB0_9:
	s_load_dwordx2 s[0:1], s[4:5], 0x28
	s_lshl_b64 s[4:5], s[14:15], 3
                                        ; implicit-def: $sgpr6_sgpr7
                                        ; implicit-def: $sgpr14
	s_add_u32 s2, s18, s4
	s_addc_u32 s3, s19, s5
	s_waitcnt lgkmcnt(0)
	v_cmp_gt_u64_e32 vcc_lo, s[0:1], v[4:5]
	v_cmp_le_u64_e64 s0, s[0:1], v[4:5]
	s_and_saveexec_b32 s1, s0
	s_xor_b32 s0, exec_lo, s1
; %bb.10:
	s_mov_b32 s14, 0
	s_mov_b64 s[6:7], 0
                                        ; implicit-def: $vgpr6_vgpr7
; %bb.11:
	s_or_saveexec_b32 s1, s0
	v_mov_b32_e32 v11, s7
	v_mov_b32_e32 v23, s7
	;; [unrolled: 1-line block ×17, first 2 shown]
                                        ; implicit-def: $vgpr37
                                        ; implicit-def: $vgpr29
                                        ; implicit-def: $vgpr33
                                        ; implicit-def: $vgpr25
                                        ; implicit-def: $vgpr39
                                        ; implicit-def: $vgpr31
                                        ; implicit-def: $vgpr35
                                        ; implicit-def: $vgpr27
	s_xor_b32 exec_lo, exec_lo, s1
	s_cbranch_execz .LBB0_13
; %bb.12:
	s_add_u32 s4, s16, s4
	s_addc_u32 s5, s17, s5
	v_lshlrev_b64 v[6:7], 3, v[6:7]
	s_load_dwordx2 s[4:5], s[4:5], 0x0
	v_lshlrev_b32_e32 v28, 3, v0
	v_or_b32_e32 v11, 0x1800, v28
	v_or_b32_e32 v14, 0x2000, v28
	;; [unrolled: 1-line block ×7, first 2 shown]
	s_waitcnt lgkmcnt(0)
	v_mul_lo_u32 v3, s5, v4
	v_mul_lo_u32 v10, s4, v5
	v_mad_u64_u32 v[8:9], null, s4, v4, 0
	v_add3_u32 v9, v9, v10, v3
	v_or_b32_e32 v3, 0x800, v28
	v_or_b32_e32 v10, 0x1000, v28
	v_lshlrev_b64 v[8:9], 3, v[8:9]
	v_add_co_u32 v8, s0, s8, v8
	v_add_co_ci_u32_e64 v9, s0, s9, v9, s0
	v_add_co_u32 v29, s0, v8, v6
	v_add_co_ci_u32_e64 v32, s0, v9, v7, s0
	;; [unrolled: 2-line block ×9, first 2 shown]
	s_clause 0x3
	global_load_dwordx2 v[10:11], v[6:7], off
	global_load_dwordx2 v[14:15], v[8:9], off
	;; [unrolled: 1-line block ×4, first 2 shown]
	v_add_co_u32 v6, s0, v29, v22
	v_or_b32_e32 v3, 0x4000, v28
	v_add_co_ci_u32_e64 v7, s0, 0, v32, s0
	s_clause 0x3
	global_load_dwordx2 v[22:23], v[20:21], off
	global_load_dwordx2 v[16:17], v[24:25], off
	;; [unrolled: 1-line block ×4, first 2 shown]
	v_or_b32_e32 v24, 0x4800, v28
	v_add_co_u32 v6, s0, v29, v3
	v_or_b32_e32 v3, 0x5000, v28
	v_add_co_ci_u32_e64 v7, s0, 0, v32, s0
	v_add_co_u32 v24, s0, v29, v24
	v_add_co_ci_u32_e64 v25, s0, 0, v32, s0
	v_add_co_u32 v26, s0, v29, v3
	v_or_b32_e32 v3, 0x6000, v28
	v_add_co_ci_u32_e64 v27, s0, 0, v32, s0
	v_add_co_u32 v30, s0, v29, v30
	v_add_co_ci_u32_e64 v31, s0, 0, v32, s0
	v_add_co_u32 v34, s0, v29, v3
	v_or_b32_e32 v3, 0x7000, v28
	v_add_co_ci_u32_e64 v35, s0, 0, v32, s0
	v_add_co_u32 v40, s0, v29, v33
	v_or_b32_e32 v28, 0x7800, v28
	v_add_co_ci_u32_e64 v41, s0, 0, v32, s0
	v_add_co_u32 v42, s0, v29, v3
	v_add_co_ci_u32_e64 v43, s0, 0, v32, s0
	v_add_co_u32 v44, s0, v29, v28
	v_add_co_ci_u32_e64 v45, s0, 0, v32, s0
	s_clause 0x7
	global_load_dwordx2 v[36:37], v[6:7], off
	global_load_dwordx2 v[28:29], v[24:25], off
	;; [unrolled: 1-line block ×8, first 2 shown]
	v_mov_b32_e32 v3, v0
.LBB0_13:
	s_or_b32 exec_lo, exec_lo, s1
	s_waitcnt vmcnt(7)
	v_sub_f32_e32 v6, v10, v36
	v_sub_f32_e32 v7, v11, v37
	s_waitcnt vmcnt(3)
	v_sub_f32_e32 v36, v22, v38
	v_sub_f32_e32 v33, v19, v33
	;; [unrolled: 3-line block ×3, first 2 shown]
	v_sub_f32_e32 v32, v18, v32
	v_fma_f32 v22, v22, 2.0, -v36
	v_sub_f32_e32 v35, v21, v35
	v_fma_f32 v20, v20, 2.0, -v34
	v_sub_f32_e32 v36, v7, v36
	v_sub_f32_e32 v34, v33, v34
	v_fma_f32 v10, v10, 2.0, -v6
	v_fma_f32 v11, v11, 2.0, -v7
	;; [unrolled: 1-line block ×6, first 2 shown]
	v_add_f32_e32 v37, v6, v37
	v_fma_f32 v7, v7, 2.0, -v36
	v_add_f32_e32 v35, v32, v35
	v_fma_f32 v33, v33, 2.0, -v34
	v_sub_f32_e32 v29, v15, v29
	v_sub_f32_e32 v30, v16, v30
	v_sub_f32_e32 v25, v9, v25
	s_waitcnt vmcnt(0)
	v_sub_f32_e32 v26, v12, v26
	v_sub_f32_e32 v22, v10, v22
	;; [unrolled: 1-line block ×3, first 2 shown]
	v_fma_f32 v6, v6, 2.0, -v37
	v_fma_f32 v32, v32, 2.0, -v35
	v_fmamk_f32 v41, v33, 0xbf3504f3, v7
	v_sub_f32_e32 v28, v14, v28
	v_sub_f32_e32 v31, v17, v31
	v_fma_f32 v16, v16, 2.0, -v30
	v_sub_f32_e32 v24, v8, v24
	v_sub_f32_e32 v27, v13, v27
	v_fma_f32 v12, v12, 2.0, -v26
	v_fma_f32 v10, v10, 2.0, -v22
	;; [unrolled: 1-line block ×3, first 2 shown]
	v_sub_f32_e32 v30, v29, v30
	v_sub_f32_e32 v26, v25, v26
	v_fmamk_f32 v38, v32, 0xbf3504f3, v6
	v_fmac_f32_e32 v41, 0xbf3504f3, v32
	v_fmamk_f32 v32, v35, 0x3f3504f3, v37
	v_fma_f32 v15, v15, 2.0, -v29
	v_fma_f32 v17, v17, 2.0, -v31
	;; [unrolled: 1-line block ×4, first 2 shown]
	v_add_f32_e32 v31, v28, v31
	v_add_f32_e32 v27, v24, v27
	v_fma_f32 v29, v29, 2.0, -v30
	v_sub_f32_e32 v39, v10, v18
	v_fma_f32 v18, v25, 2.0, -v26
	v_fmac_f32_e32 v32, 0x3f3504f3, v34
	v_fma_f32 v14, v14, 2.0, -v28
	v_fma_f32 v8, v8, 2.0, -v24
	v_sub_f32_e32 v23, v11, v23
	v_sub_f32_e32 v21, v19, v21
	;; [unrolled: 1-line block ×4, first 2 shown]
	v_fma_f32 v28, v28, 2.0, -v31
	v_fma_f32 v24, v24, 2.0, -v27
	;; [unrolled: 1-line block ×3, first 2 shown]
	v_fmamk_f32 v37, v18, 0xbf3504f3, v29
	v_fma_f32 v11, v11, 2.0, -v23
	v_sub_f32_e32 v16, v14, v16
	v_fma_f32 v19, v19, 2.0, -v21
	v_fma_f32 v15, v15, 2.0, -v17
	v_sub_f32_e32 v12, v8, v12
	v_fma_f32 v9, v9, 2.0, -v13
	v_fmamk_f32 v43, v34, 0x3f3504f3, v36
	v_fmamk_f32 v34, v24, 0xbf3504f3, v28
	v_fmac_f32_e32 v37, 0xbf3504f3, v24
	v_fmamk_f32 v44, v27, 0x3f3504f3, v31
	v_fma_f32 v14, v14, 2.0, -v16
	v_fma_f32 v8, v8, 2.0, -v12
	v_sub_f32_e32 v40, v11, v19
	v_fmac_f32_e32 v38, 0x3f3504f3, v33
	v_add_f32_e32 v21, v22, v21
	v_sub_f32_e32 v42, v23, v20
	v_fma_f32 v20, v7, 2.0, -v41
	v_fmac_f32_e32 v43, 0xbf3504f3, v35
	v_sub_f32_e32 v35, v15, v9
	v_fmac_f32_e32 v34, 0x3f3504f3, v18
	v_add_f32_e32 v45, v16, v13
	v_fmamk_f32 v47, v26, 0x3f3504f3, v30
	v_fmac_f32_e32 v44, 0x3f3504f3, v26
	v_fma_f32 v13, v29, 2.0, -v37
	v_fma_f32 v11, v11, 2.0, -v40
	;; [unrolled: 1-line block ×4, first 2 shown]
	v_sub_f32_e32 v33, v14, v8
	v_fma_f32 v7, v15, 2.0, -v35
	v_fma_f32 v15, v28, 2.0, -v34
	v_sub_f32_e32 v46, v17, v12
	v_fma_f32 v16, v16, 2.0, -v45
	v_fmac_f32_e32 v47, 0xbf3504f3, v27
	v_fma_f32 v24, v31, 2.0, -v44
	v_fmamk_f32 v9, v13, 0xbf6c835e, v20
	v_fma_f32 v23, v23, 2.0, -v42
	v_fma_f32 v36, v36, 2.0, -v43
	;; [unrolled: 1-line block ×4, first 2 shown]
	v_sub_f32_e32 v8, v11, v7
	v_fmamk_f32 v7, v15, 0xbf6c835e, v19
	v_fma_f32 v26, v30, 2.0, -v47
	v_fmamk_f32 v14, v16, 0xbf3504f3, v22
	v_fmac_f32_e32 v9, 0xbec3ef15, v15
	v_fmamk_f32 v15, v24, 0xbec3ef15, v25
	v_fmamk_f32 v28, v37, 0x3ec3ef15, v41
	v_fma_f32 v10, v10, 2.0, -v39
	v_fmamk_f32 v17, v18, 0xbf3504f3, v23
	v_fmac_f32_e32 v14, 0x3f3504f3, v18
	v_fmamk_f32 v18, v26, 0xbec3ef15, v36
	v_fmac_f32_e32 v15, 0x3f6c835e, v26
	v_sub_f32_e32 v27, v40, v33
	v_fmamk_f32 v26, v34, 0x3ec3ef15, v38
	v_fmamk_f32 v33, v45, 0x3f3504f3, v21
	v_fmac_f32_e32 v28, 0xbf6c835e, v34
	v_fmamk_f32 v34, v44, 0x3f6c835e, v32
	v_sub_f32_e32 v6, v10, v6
	v_fmac_f32_e32 v7, 0x3ec3ef15, v13
	v_fma_f32 v13, v20, 2.0, -v9
	v_fma_f32 v20, v25, 2.0, -v15
	v_add_f32_e32 v25, v39, v35
	v_fmac_f32_e32 v26, 0x3f6c835e, v37
	v_fmac_f32_e32 v33, 0x3f3504f3, v46
	;; [unrolled: 1-line block ×3, first 2 shown]
	v_fma_f32 v10, v10, 2.0, -v6
	v_fma_f32 v12, v11, 2.0, -v8
	;; [unrolled: 1-line block ×4, first 2 shown]
	v_lshl_add_u32 v22, v0, 6, 0
	v_fmac_f32_e32 v18, 0xbf6c835e, v24
	v_fma_f32 v29, v39, 2.0, -v25
	v_fma_f32 v30, v38, 2.0, -v26
	;; [unrolled: 1-line block ×4, first 2 shown]
	s_load_dwordx2 s[0:1], s[2:3], 0x0
	ds_write2_b64 v22, v[10:11], v[19:20] offset1:1
	ds_write2_b64 v22, v[29:30], v[37:38] offset0:2 offset1:3
	ds_write2_b64 v22, v[6:7], v[14:15] offset0:4 offset1:5
	v_and_b32_e32 v6, 15, v0
	v_fma_f32 v24, v36, 2.0, -v18
	v_fmamk_f32 v35, v46, 0x3f3504f3, v42
	v_fmamk_f32 v36, v47, 0x3f6c835e, v43
	v_fmac_f32_e32 v17, 0xbf3504f3, v16
	v_mul_u32_u24_e32 v6, 15, v6
	v_mad_i32_i24 v16, 0xffffffc4, v0, v22
	v_fmac_f32_e32 v35, 0xbf3504f3, v45
	v_fmac_f32_e32 v36, 0xbec3ef15, v44
	v_fma_f32 v23, v23, 2.0, -v17
	v_lshlrev_b32_e32 v21, 3, v6
	v_fma_f32 v31, v40, 2.0, -v27
	v_fma_f32 v32, v41, 2.0, -v28
	v_fma_f32 v39, v42, 2.0, -v35
	v_fma_f32 v40, v43, 2.0, -v36
	ds_write2_b64 v22, v[25:26], v[33:34] offset0:6 offset1:7
	s_waitcnt lgkmcnt(0)
	s_barrier
	buffer_gl0_inv
	ds_read2st64_b32 v[14:15], v16 offset1:4
	ds_read2st64_b32 v[41:42], v16 offset0:8 offset1:12
	ds_read2st64_b32 v[43:44], v16 offset0:16 offset1:20
	;; [unrolled: 1-line block ×7, first 2 shown]
	s_waitcnt lgkmcnt(0)
	s_barrier
	buffer_gl0_inv
	ds_write2_b64 v22, v[12:13], v[23:24] offset1:1
	ds_write2_b64 v22, v[31:32], v[39:40] offset0:2 offset1:3
	ds_write2_b64 v22, v[8:9], v[17:18] offset0:4 offset1:5
	;; [unrolled: 1-line block ×3, first 2 shown]
	s_waitcnt lgkmcnt(0)
	s_barrier
	buffer_gl0_inv
	s_clause 0x7
	global_load_dwordx4 v[6:9], v21, s[12:13]
	global_load_dwordx4 v[10:13], v21, s[12:13] offset:16
	global_load_dwordx4 v[17:20], v21, s[12:13] offset:32
	global_load_dwordx4 v[23:26], v21, s[12:13] offset:48
	global_load_dwordx4 v[27:30], v21, s[12:13] offset:64
	global_load_dwordx4 v[31:34], v21, s[12:13] offset:80
	global_load_dwordx4 v[35:38], v21, s[12:13] offset:96
	global_load_dwordx2 v[39:40], v21, s[12:13] offset:112
	ds_read2st64_b32 v[55:56], v16 offset1:4
	ds_read2st64_b32 v[57:58], v16 offset0:8 offset1:12
	ds_read2st64_b32 v[59:60], v16 offset0:16 offset1:20
	s_waitcnt vmcnt(7) lgkmcnt(2)
	v_mul_f32_e32 v21, v56, v7
	v_mul_f32_e32 v7, v15, v7
	s_waitcnt lgkmcnt(1)
	v_mul_f32_e32 v61, v57, v9
	v_mul_f32_e32 v9, v41, v9
	v_fmac_f32_e32 v21, v15, v6
	v_fma_f32 v15, v56, v6, -v7
	ds_read2st64_b32 v[6:7], v16 offset0:24 offset1:28
	v_fmac_f32_e32 v61, v41, v8
	v_fma_f32 v41, v57, v8, -v9
	s_waitcnt vmcnt(6)
	v_mul_f32_e32 v56, v58, v11
	v_mul_f32_e32 v8, v42, v11
	s_waitcnt lgkmcnt(1)
	v_mul_f32_e32 v57, v59, v13
	v_mul_f32_e32 v11, v43, v13
	v_lshl_or_b32 v13, v0, 4, v0
	v_fmac_f32_e32 v56, v42, v10
	v_fma_f32 v42, v58, v10, -v8
	ds_read2st64_b32 v[8:9], v16 offset0:32 offset1:36
	v_fmac_f32_e32 v57, v43, v12
	v_fma_f32 v43, v59, v12, -v11
	s_waitcnt vmcnt(5)
	v_mul_f32_e32 v58, v60, v18
	v_and_b32_e32 v12, 0xf0f, v13
	ds_read2st64_b32 v[10:11], v16 offset0:40 offset1:44
	v_mul_f32_e32 v13, v44, v18
	v_mul_f32_e32 v18, v45, v20
	v_fmac_f32_e32 v58, v44, v17
	v_lshl_add_u32 v59, v12, 2, 0
	s_waitcnt lgkmcnt(2)
	v_mul_f32_e32 v44, v6, v20
	v_fma_f32 v20, v60, v17, -v13
	ds_read2st64_b32 v[12:13], v16 offset0:48 offset1:52
	v_fma_f32 v6, v6, v19, -v18
	ds_read2st64_b32 v[17:18], v16 offset0:56 offset1:60
	v_fmac_f32_e32 v44, v45, v19
	s_waitcnt vmcnt(4)
	v_mul_f32_e32 v19, v7, v24
	v_mul_f32_e32 v24, v46, v24
	s_waitcnt vmcnt(0) lgkmcnt(0)
	s_barrier
	v_mul_f32_e32 v45, v8, v26
	v_mul_f32_e32 v26, v47, v26
	v_fmac_f32_e32 v19, v46, v23
	v_fma_f32 v7, v7, v23, -v24
	v_mul_f32_e32 v23, v9, v28
	v_mul_f32_e32 v24, v48, v28
	v_fmac_f32_e32 v45, v47, v25
	v_fma_f32 v8, v8, v25, -v26
	v_mul_f32_e32 v25, v10, v30
	v_mul_f32_e32 v26, v49, v30
	v_mul_f32_e32 v28, v11, v32
	v_mul_f32_e32 v30, v50, v32
	v_fmac_f32_e32 v23, v48, v27
	v_mul_f32_e32 v32, v12, v34
	v_mul_f32_e32 v34, v51, v34
	v_fma_f32 v9, v9, v27, -v24
	v_mul_f32_e32 v27, v52, v36
	v_fmac_f32_e32 v25, v49, v29
	v_fma_f32 v10, v10, v29, -v26
	v_mul_f32_e32 v26, v17, v38
	v_mul_f32_e32 v29, v53, v38
	;; [unrolled: 1-line block ×5, first 2 shown]
	v_fmac_f32_e32 v28, v50, v31
	v_fma_f32 v11, v11, v31, -v30
	v_fmac_f32_e32 v32, v51, v33
	v_fma_f32 v12, v12, v33, -v34
	v_fma_f32 v13, v13, v35, -v27
	v_fmac_f32_e32 v26, v53, v37
	v_fma_f32 v17, v17, v37, -v29
	v_fma_f32 v18, v18, v39, -v38
	v_fmac_f32_e32 v24, v52, v35
	v_fmac_f32_e32 v36, v54, v39
	v_sub_f32_e32 v27, v14, v45
	v_sub_f32_e32 v8, v55, v8
	;; [unrolled: 1-line block ×16, first 2 shown]
	v_fma_f32 v31, v55, 2.0, -v8
	v_fma_f32 v32, v57, 2.0, -v29
	;; [unrolled: 1-line block ×11, first 2 shown]
	v_add_f32_e32 v12, v27, v12
	v_sub_f32_e32 v29, v8, v29
	v_add_f32_e32 v17, v25, v17
	v_sub_f32_e32 v26, v10, v26
	v_add_f32_e32 v13, v23, v13
	v_add_f32_e32 v18, v28, v18
	v_fma_f32 v14, v14, 2.0, -v27
	v_fma_f32 v21, v21, 2.0, -v23
	;; [unrolled: 1-line block ×4, first 2 shown]
	v_sub_f32_e32 v24, v9, v24
	v_sub_f32_e32 v30, v11, v30
	v_fma_f32 v38, v56, 2.0, -v28
	v_sub_f32_e32 v33, v31, v33
	v_fma_f32 v27, v27, 2.0, -v12
	v_fma_f32 v8, v8, 2.0, -v29
	v_sub_f32_e32 v36, v34, v36
	v_sub_f32_e32 v6, v35, v6
	v_fma_f32 v25, v25, 2.0, -v17
	v_fma_f32 v10, v10, 2.0, -v26
	v_sub_f32_e32 v20, v15, v20
	v_fma_f32 v23, v23, 2.0, -v13
	v_sub_f32_e32 v7, v39, v7
	v_fma_f32 v28, v28, 2.0, -v18
	v_fmamk_f32 v41, v26, 0x3f3504f3, v29
	v_sub_f32_e32 v32, v14, v32
	v_sub_f32_e32 v37, v21, v37
	v_fma_f32 v9, v9, 2.0, -v24
	v_fma_f32 v11, v11, 2.0, -v30
	v_fmamk_f32 v40, v17, 0x3f3504f3, v12
	v_fmamk_f32 v42, v18, 0x3f3504f3, v13
	v_sub_f32_e32 v19, v38, v19
	v_fmamk_f32 v43, v30, 0x3f3504f3, v24
	v_fma_f32 v31, v31, 2.0, -v33
	v_fma_f32 v34, v34, 2.0, -v36
	;; [unrolled: 1-line block ×5, first 2 shown]
	v_fmamk_f32 v44, v25, 0xbf3504f3, v27
	v_fmamk_f32 v45, v10, 0xbf3504f3, v8
	v_sub_f32_e32 v36, v33, v36
	v_fmac_f32_e32 v41, 0xbf3504f3, v17
	v_fmamk_f32 v17, v28, 0xbf3504f3, v23
	v_add_f32_e32 v6, v32, v6
	v_fmac_f32_e32 v40, 0x3f3504f3, v26
	v_fmamk_f32 v26, v11, 0xbf3504f3, v9
	v_add_f32_e32 v7, v37, v7
	v_fmac_f32_e32 v42, 0x3f3504f3, v30
	v_fma_f32 v14, v14, 2.0, -v32
	v_fma_f32 v21, v21, 2.0, -v37
	;; [unrolled: 1-line block ×3, first 2 shown]
	v_fmac_f32_e32 v43, 0xbf3504f3, v18
	v_sub_f32_e32 v30, v31, v35
	v_fmac_f32_e32 v44, 0x3f3504f3, v10
	v_fmac_f32_e32 v45, 0xbf3504f3, v25
	v_fma_f32 v25, v33, 2.0, -v36
	v_sub_f32_e32 v33, v15, v39
	v_fmac_f32_e32 v17, 0x3f3504f3, v11
	v_sub_f32_e32 v19, v20, v19
	v_fma_f32 v10, v32, 2.0, -v6
	v_fma_f32 v12, v12, 2.0, -v40
	v_fmac_f32_e32 v26, 0xbf3504f3, v28
	v_fma_f32 v11, v37, 2.0, -v7
	v_fma_f32 v13, v13, 2.0, -v42
	v_sub_f32_e32 v18, v14, v34
	v_fma_f32 v29, v29, 2.0, -v41
	v_sub_f32_e32 v32, v21, v38
	v_fma_f32 v24, v24, 2.0, -v43
	v_fmamk_f32 v28, v7, 0x3f3504f3, v6
	v_fmamk_f32 v35, v42, 0x3f6c835e, v40
	;; [unrolled: 1-line block ×3, first 2 shown]
	v_fma_f32 v31, v31, 2.0, -v30
	v_fma_f32 v27, v27, 2.0, -v44
	;; [unrolled: 1-line block ×7, first 2 shown]
	v_fmamk_f32 v38, v11, 0xbf3504f3, v10
	v_fmamk_f32 v46, v13, 0xbec3ef15, v12
	;; [unrolled: 1-line block ×4, first 2 shown]
	v_fma_f32 v14, v14, 2.0, -v18
	v_fma_f32 v21, v21, 2.0, -v32
	v_fmamk_f32 v47, v24, 0xbec3ef15, v29
	v_fmac_f32_e32 v28, 0x3f3504f3, v19
	v_fmac_f32_e32 v35, 0x3ec3ef15, v43
	;; [unrolled: 1-line block ×3, first 2 shown]
	v_sub_f32_e32 v42, v31, v15
	v_fmamk_f32 v15, v23, 0xbf6c835e, v27
	v_fmamk_f32 v39, v20, 0xbf3504f3, v25
	;; [unrolled: 1-line block ×3, first 2 shown]
	v_fmac_f32_e32 v38, 0x3f3504f3, v20
	v_fmac_f32_e32 v46, 0x3f6c835e, v24
	v_add_f32_e32 v33, v18, v33
	v_fmac_f32_e32 v48, 0x3f6c835e, v26
	v_fmac_f32_e32 v34, 0xbf3504f3, v7
	v_sub_f32_e32 v7, v14, v21
	v_fmac_f32_e32 v47, 0xbf6c835e, v13
	v_fma_f32 v6, v6, 2.0, -v28
	v_fma_f32 v13, v40, 2.0, -v35
	v_fmac_f32_e32 v15, 0x3ec3ef15, v9
	v_fmamk_f32 v49, v26, 0x3ec3ef15, v45
	v_fmac_f32_e32 v39, 0xbf3504f3, v11
	v_fmac_f32_e32 v43, 0xbec3ef15, v23
	v_fma_f32 v9, v10, 2.0, -v38
	v_fma_f32 v10, v12, 2.0, -v46
	;; [unrolled: 1-line block ×4, first 2 shown]
	buffer_gl0_inv
	ds_write2_b32 v59, v28, v35 offset0:224 offset1:240
	v_fma_f32 v14, v14, 2.0, -v7
	ds_write2_b32 v59, v6, v13 offset0:96 offset1:112
	ds_write2_b32 v59, v38, v46 offset0:160 offset1:176
	;; [unrolled: 1-line block ×3, first 2 shown]
	v_fma_f32 v6, v27, 2.0, -v15
	v_fmac_f32_e32 v49, 0xbf6c835e, v17
	v_fma_f32 v23, v25, 2.0, -v39
	v_fma_f32 v25, v8, 2.0, -v43
	ds_write2_b32 v59, v9, v10 offset0:32 offset1:48
	ds_write2_b32 v59, v11, v12 offset0:64 offset1:80
	;; [unrolled: 1-line block ×3, first 2 shown]
	ds_write2_b32 v59, v14, v6 offset1:16
	s_waitcnt lgkmcnt(0)
	s_barrier
	buffer_gl0_inv
	ds_read2st64_b32 v[6:7], v16 offset1:4
	ds_read2st64_b32 v[8:9], v16 offset0:8 offset1:12
	ds_read2st64_b32 v[10:11], v16 offset0:16 offset1:20
	;; [unrolled: 1-line block ×7, first 2 shown]
	v_sub_f32_e32 v32, v30, v32
	v_fma_f32 v24, v31, 2.0, -v42
	v_fma_f32 v26, v29, 2.0, -v47
	;; [unrolled: 1-line block ×6, first 2 shown]
	s_waitcnt lgkmcnt(0)
	s_barrier
	buffer_gl0_inv
	ds_write2_b32 v59, v24, v25 offset1:16
	ds_write2_b32 v59, v23, v26 offset0:32 offset1:48
	ds_write2_b32 v59, v27, v28 offset0:64 offset1:80
	;; [unrolled: 1-line block ×7, first 2 shown]
	s_waitcnt lgkmcnt(0)
	s_barrier
	buffer_gl0_inv
	s_and_saveexec_b32 s2, vcc_lo
	s_cbranch_execz .LBB0_15
; %bb.14:
	v_mul_u32_u24_e32 v23, 15, v0
	v_mul_i32_i24_e32 v0, 0xffffffc4, v0
	v_lshlrev_b32_e32 v47, 3, v23
	v_add_nc_u32_e32 v58, v22, v0
	s_clause 0x4
	global_load_dwordx4 v[23:26], v47, s[12:13] offset:2016
	global_load_dwordx4 v[27:30], v47, s[12:13] offset:2000
	;; [unrolled: 1-line block ×4, first 2 shown]
	global_load_dwordx2 v[51:52], v47, s[12:13] offset:2032
	ds_read2st64_b32 v[53:54], v58 offset0:56 offset1:60
	ds_read2st64_b32 v[55:56], v58 offset0:48 offset1:52
	s_clause 0x1
	global_load_dwordx4 v[39:42], v47, s[12:13] offset:1952
	global_load_dwordx4 v[43:46], v47, s[12:13] offset:1936
	s_waitcnt vmcnt(6)
	v_mul_f32_e32 v22, v16, v25
	v_mul_f32_e32 v16, v16, v26
	;; [unrolled: 1-line block ×4, first 2 shown]
	s_waitcnt lgkmcnt(1)
	v_fmac_f32_e32 v22, v53, v26
	v_fma_f32 v21, v53, v25, -v16
	s_waitcnt lgkmcnt(0)
	v_fma_f32 v16, v56, v23, -v48
	global_load_dwordx4 v[47:50], v47, s[12:13] offset:1920
	v_fmac_f32_e32 v0, v56, v24
	ds_read2st64_b32 v[56:57], v58 offset0:40 offset1:44
	s_waitcnt vmcnt(6)
	v_mul_f32_e32 v24, v20, v29
	v_mul_f32_e32 v20, v20, v30
	;; [unrolled: 1-line block ×3, first 2 shown]
	s_waitcnt vmcnt(5)
	v_mul_f32_e32 v26, v18, v34
	s_waitcnt vmcnt(1)
	v_mul_f32_e32 v59, v10, v45
	v_fmac_f32_e32 v24, v55, v30
	v_fma_f32 v23, v55, v29, -v20
	v_mul_lo_u32 v53, s1, v4
	s_waitcnt lgkmcnt(0)
	v_mul_f32_e32 v20, v57, v28
	ds_read2st64_b32 v[28:29], v58 offset0:32 offset1:36
	v_fma_f32 v26, v56, v33, -v26
	v_fma_f32 v25, v57, v27, -v25
	v_mul_lo_u32 v57, s0, v5
	v_fmac_f32_e32 v20, v19, v27
	v_mul_f32_e32 v19, v56, v34
	ds_read2st64_b32 v[55:56], v58 offset0:24 offset1:28
	v_mul_f32_e32 v27, v15, v32
	v_mul_f32_e32 v5, v13, v35
	;; [unrolled: 1-line block ×3, first 2 shown]
	v_fmac_f32_e32 v19, v18, v33
	ds_read2st64_b32 v[33:34], v58 offset0:8 offset1:12
	s_waitcnt lgkmcnt(2)
	v_mul_f32_e32 v18, v29, v32
	v_fma_f32 v27, v29, v31, -v27
	v_mad_u64_u32 v[29:30], null, s0, v4, 0
	v_mov_b32_e32 v4, 0
	v_fmac_f32_e32 v18, v15, v31
	v_mul_f32_e32 v15, v28, v38
	v_mul_f32_e32 v31, v14, v38
	s_waitcnt lgkmcnt(1)
	v_fmac_f32_e32 v5, v56, v36
	v_fma_f32 v13, v56, v35, -v13
	v_lshlrev_b64 v[35:36], 3, v[1:2]
	v_fmac_f32_e32 v15, v14, v37
	v_mul_f32_e32 v14, v17, v51
	v_mul_f32_e32 v17, v17, v52
	;; [unrolled: 1-line block ×5, first 2 shown]
	v_fma_f32 v28, v28, v37, -v31
	v_fma_f32 v1, v54, v51, -v17
	v_mul_f32_e32 v17, v12, v41
	v_mul_f32_e32 v12, v11, v40
	ds_read2st64_b32 v[10:11], v58 offset1:4
	ds_read2st64_b32 v[31:32], v58 offset0:16 offset1:20
	v_add3_u32 v30, v30, v57, v53
	v_fmac_f32_e32 v17, v55, v42
	v_fma_f32 v55, v55, v41, -v2
	v_mul_f32_e32 v2, v9, v44
	s_waitcnt lgkmcnt(2)
	v_mul_f32_e32 v60, v34, v44
	v_lshlrev_b64 v[29:30], 3, v[29:30]
	v_or_b32_e32 v41, 0x400, v3
	v_mov_b32_e32 v42, v4
	v_fma_f32 v62, v34, v43, -v2
	v_fmac_f32_e32 v60, v9, v43
	v_mov_b32_e32 v9, v4
	v_or_b32_e32 v37, 0x100, v3
	v_lshlrev_b64 v[41:42], 3, v[41:42]
	v_fmac_f32_e32 v14, v54, v52
	v_or_b32_e32 v51, 0x200, v3
	v_mov_b32_e32 v52, v4
	v_or_b32_e32 v43, 0x500, v3
	v_mov_b32_e32 v44, v4
	v_or_b32_e32 v53, 0xe00, v3
	s_waitcnt lgkmcnt(0)
	v_fmac_f32_e32 v56, v32, v40
	v_fma_f32 v58, v32, v39, -v12
	v_or_b32_e32 v32, 0xc00, v3
	v_fmac_f32_e32 v59, v31, v46
	v_fma_f32 v61, v31, v45, -v38
	v_mov_b32_e32 v38, v4
	v_or_b32_e32 v39, 0x300, v3
	v_mov_b32_e32 v40, v4
	v_or_b32_e32 v45, 0x600, v3
	v_mov_b32_e32 v46, v4
	v_lshlrev_b64 v[43:44], 3, v[43:44]
	v_mov_b32_e32 v12, v4
	v_lshlrev_b64 v[39:40], 3, v[39:40]
	;; [unrolled: 2-line block ×3, first 2 shown]
	v_sub_f32_e32 v25, v62, v25
	v_sub_f32_e32 v14, v5, v14
	;; [unrolled: 1-line block ×3, first 2 shown]
	v_lshlrev_b64 v[53:54], 3, v[53:54]
	v_sub_f32_e32 v20, v60, v20
	v_sub_f32_e32 v22, v17, v22
	;; [unrolled: 1-line block ×5, first 2 shown]
	v_fma_f32 v60, v60, 2.0, -v20
	v_fma_f32 v5, v5, 2.0, -v14
	;; [unrolled: 1-line block ×6, first 2 shown]
	v_sub_f32_e32 v5, v60, v5
	s_waitcnt vmcnt(0)
	v_mul_f32_e32 v2, v8, v50
	v_mul_f32_e32 v57, v33, v50
	;; [unrolled: 1-line block ×3, first 2 shown]
	v_mov_b32_e32 v50, v4
	v_fma_f32 v63, v33, v49, -v2
	v_mul_f32_e32 v2, v7, v48
	v_mov_b32_e32 v33, v4
	v_fmac_f32_e32 v57, v8, v49
	v_or_b32_e32 v8, 0x700, v3
	v_fmac_f32_e32 v64, v7, v47
	v_fma_f32 v65, v11, v47, -v2
	v_add_co_u32 v2, vcc_lo, s10, v29
	v_add_co_ci_u32_e32 v47, vcc_lo, s11, v30, vcc_lo
	v_lshlrev_b64 v[31:32], 3, v[32:33]
	v_lshlrev_b64 v[7:8], 3, v[8:9]
	v_add_co_u32 v9, vcc_lo, v2, v35
	v_add_co_ci_u32_e32 v66, vcc_lo, v47, v36, vcc_lo
	v_lshlrev_b64 v[29:30], 3, v[3:4]
	v_add_co_u32 v31, vcc_lo, v9, v31
	v_add_co_ci_u32_e32 v32, vcc_lo, v66, v32, vcc_lo
	v_lshlrev_b64 v[33:34], 3, v[37:38]
	v_add_co_u32 v35, vcc_lo, v9, v41
	v_add_co_ci_u32_e32 v36, vcc_lo, v66, v42, vcc_lo
	v_lshlrev_b64 v[37:38], 3, v[51:52]
	v_add_co_u32 v29, vcc_lo, v9, v29
	v_add_co_ci_u32_e32 v30, vcc_lo, v66, v30, vcc_lo
	v_add_co_u32 v33, vcc_lo, v9, v33
	v_add_co_ci_u32_e32 v34, vcc_lo, v66, v34, vcc_lo
	v_add_co_u32 v37, vcc_lo, v9, v37
	v_add_co_ci_u32_e32 v38, vcc_lo, v66, v38, vcc_lo
	;; [unrolled: 2-line block ×3, first 2 shown]
	v_add_co_u32 v41, vcc_lo, v9, v43
	v_or_b32_e32 v11, 0x800, v3
	v_add_co_ci_u32_e32 v42, vcc_lo, v66, v44, vcc_lo
	v_add_co_u32 v43, vcc_lo, v9, v45
	v_add_co_ci_u32_e32 v44, vcc_lo, v66, v46, vcc_lo
	v_or_b32_e32 v45, 0x900, v3
	v_mov_b32_e32 v46, v4
	v_lshlrev_b64 v[11:12], 3, v[11:12]
	v_or_b32_e32 v47, 0xa00, v3
	v_mov_b32_e32 v48, v4
	v_add_co_u32 v7, vcc_lo, v9, v7
	v_lshlrev_b64 v[45:46], 3, v[45:46]
	v_or_b32_e32 v49, 0xb00, v3
	v_add_co_ci_u32_e32 v8, vcc_lo, v66, v8, vcc_lo
	v_add_co_u32 v11, vcc_lo, v9, v11
	v_lshlrev_b64 v[47:48], 3, v[47:48]
	v_or_b32_e32 v51, 0xd00, v3
	v_add_co_ci_u32_e32 v12, vcc_lo, v66, v12, vcc_lo
	v_add_co_u32 v45, vcc_lo, v9, v45
	v_lshlrev_b64 v[49:50], 3, v[49:50]
	v_add_co_ci_u32_e32 v46, vcc_lo, v66, v46, vcc_lo
	v_add_co_u32 v47, vcc_lo, v9, v47
	v_lshlrev_b64 v[51:52], 3, v[51:52]
	v_or_b32_e32 v3, 0xf00, v3
	v_add_co_ci_u32_e32 v48, vcc_lo, v66, v48, vcc_lo
	v_add_co_u32 v49, vcc_lo, v9, v49
	v_add_co_ci_u32_e32 v50, vcc_lo, v66, v50, vcc_lo
	v_add_co_u32 v51, vcc_lo, v9, v51
	v_lshlrev_b64 v[2:3], 3, v[3:4]
	v_sub_f32_e32 v4, v10, v28
	v_add_co_ci_u32_e32 v52, vcc_lo, v66, v52, vcc_lo
	v_add_co_u32 v53, vcc_lo, v9, v53
	v_add_co_ci_u32_e32 v54, vcc_lo, v66, v54, vcc_lo
	v_add_co_u32 v2, vcc_lo, v9, v2
	v_fma_f32 v9, v10, 2.0, -v4
	v_sub_f32_e32 v10, v6, v15
	v_sub_f32_e32 v15, v63, v26
	;; [unrolled: 1-line block ×7, first 2 shown]
	v_fma_f32 v0, v61, 2.0, -v23
	v_fma_f32 v61, v62, 2.0, -v25
	;; [unrolled: 1-line block ×9, first 2 shown]
	v_sub_f32_e32 v64, v9, v0
	v_sub_f32_e32 v56, v62, v56
	;; [unrolled: 1-line block ×7, first 2 shown]
	v_fma_f32 v65, v9, 2.0, -v64
	v_fma_f32 v62, v62, 2.0, -v56
	;; [unrolled: 1-line block ×8, first 2 shown]
	v_sub_f32_e32 v63, v62, v9
	v_sub_f32_e32 v9, v25, v14
	;; [unrolled: 1-line block ×3, first 2 shown]
	v_add_co_ci_u32_e32 v3, vcc_lo, v66, v3, vcc_lo
	v_sub_f32_e32 v61, v65, v0
	v_sub_f32_e32 v66, v6, v1
	;; [unrolled: 1-line block ×3, first 2 shown]
	v_add_f32_e32 v14, v20, v28
	v_add_f32_e32 v16, v18, v16
	v_fmamk_f32 v28, v9, 0x3f3504f3, v27
	v_sub_f32_e32 v1, v61, v63
	v_add_f32_e32 v0, v66, v60
	v_fma_f32 v20, v20, 2.0, -v14
	v_fma_f32 v25, v25, 2.0, -v9
	v_fmac_f32_e32 v28, 0xbf3504f3, v14
	v_fmamk_f32 v14, v14, 0x3f3504f3, v16
	v_fma_f32 v26, v26, 2.0, -v27
	global_store_dwordx2 v[31:32], v[0:1], off
	v_add_f32_e32 v21, v19, v21
	v_add_f32_e32 v23, v10, v23
	v_fmac_f32_e32 v14, 0x3f3504f3, v9
	v_sub_f32_e32 v9, v15, v22
	v_sub_f32_e32 v22, v4, v24
	v_fma_f32 v18, v18, 2.0, -v16
	v_fmamk_f32 v31, v25, 0xbf3504f3, v26
	v_fma_f32 v19, v19, 2.0, -v21
	v_fma_f32 v32, v10, 2.0, -v23
	v_fmamk_f32 v24, v9, 0x3f3504f3, v22
	v_fma_f32 v15, v15, 2.0, -v9
	v_fmac_f32_e32 v31, 0xbf3504f3, v20
	v_fmamk_f32 v20, v20, 0xbf3504f3, v18
	v_fmamk_f32 v68, v19, 0xbf3504f3, v32
	v_fmac_f32_e32 v24, 0xbf3504f3, v21
	v_fmamk_f32 v21, v21, 0x3f3504f3, v23
	v_add_f32_e32 v10, v13, v56
	v_fmac_f32_e32 v20, 0x3f3504f3, v25
	v_fma_f32 v25, v4, 2.0, -v22
	v_fmac_f32_e32 v68, 0x3f3504f3, v15
	v_fmac_f32_e32 v21, 0x3f3504f3, v9
	v_sub_f32_e32 v9, v58, v5
	v_add_f32_e32 v13, v55, v59
	v_fmamk_f32 v67, v15, 0xbf3504f3, v25
	v_sub_f32_e32 v15, v64, v17
	v_fma_f32 v55, v56, 2.0, -v10
	v_fma_f32 v56, v58, 2.0, -v9
	v_fmamk_f32 v4, v10, 0x3f3504f3, v13
	v_fmac_f32_e32 v67, 0xbf3504f3, v19
	v_fmamk_f32 v5, v9, 0x3f3504f3, v15
	v_fma_f32 v58, v16, 2.0, -v14
	v_fma_f32 v27, v27, 2.0, -v28
	v_fmac_f32_e32 v4, 0x3f3504f3, v9
	v_fmamk_f32 v9, v14, 0x3f6c835e, v21
	v_fmac_f32_e32 v5, 0xbf3504f3, v10
	v_fmamk_f32 v10, v28, 0x3f6c835e, v24
	v_fma_f32 v59, v59, 2.0, -v13
	v_fma_f32 v1, v61, 2.0, -v1
	v_fmac_f32_e32 v9, 0x3ec3ef15, v28
	v_fma_f32 v28, v57, 2.0, -v60
	v_fmac_f32_e32 v10, 0xbec3ef15, v14
	v_fma_f32 v60, v64, 2.0, -v15
	v_fmamk_f32 v14, v31, 0x3ec3ef15, v67
	v_fma_f32 v57, v62, 2.0, -v63
	v_fma_f32 v62, v22, 2.0, -v24
	;; [unrolled: 1-line block ×5, first 2 shown]
	global_store_dwordx2 v[53:54], v[4:5], off
	v_fma_f32 v53, v18, 2.0, -v20
	v_fma_f32 v54, v26, 2.0, -v31
	;; [unrolled: 1-line block ×5, first 2 shown]
	v_fmamk_f32 v13, v20, 0x3ec3ef15, v68
	v_fmac_f32_e32 v14, 0xbf6c835e, v20
	v_fmamk_f32 v20, v56, 0xbf3504f3, v60
	v_fmamk_f32 v19, v55, 0xbf3504f3, v59
	;; [unrolled: 1-line block ×4, first 2 shown]
	v_fma_f32 v5, v15, 2.0, -v5
	v_fma_f32 v16, v24, 2.0, -v10
	;; [unrolled: 1-line block ×3, first 2 shown]
	v_sub_f32_e32 v22, v61, v28
	v_sub_f32_e32 v21, v6, v57
	v_fmamk_f32 v24, v54, 0xbf6c835e, v64
	v_fmamk_f32 v23, v53, 0xbf6c835e, v65
	v_fmac_f32_e32 v20, 0xbf3504f3, v55
	v_fmac_f32_e32 v19, 0x3f3504f3, v56
	;; [unrolled: 1-line block ×4, first 2 shown]
	v_fma_f32 v0, v66, 2.0, -v0
	v_fmac_f32_e32 v13, 0x3f6c835e, v31
	v_fmac_f32_e32 v24, 0xbec3ef15, v53
	;; [unrolled: 1-line block ×3, first 2 shown]
	v_fma_f32 v32, v61, 2.0, -v22
	v_fma_f32 v31, v6, 2.0, -v21
	;; [unrolled: 1-line block ×6, first 2 shown]
	global_store_dwordx2 v[35:36], v[0:1], off
	v_fma_f32 v1, v67, 2.0, -v14
	v_fma_f32 v0, v68, 2.0, -v13
	global_store_dwordx2 v[43:44], v[4:5], off
	global_store_dwordx2 v[7:8], v[15:16], off
	global_store_dwordx2 v[11:12], v[21:22], off
	global_store_dwordx2 v[47:48], v[19:20], off
	global_store_dwordx2 v[49:50], v[17:18], off
	global_store_dwordx2 v[51:52], v[13:14], off
	v_fma_f32 v5, v64, 2.0, -v24
	v_fma_f32 v4, v65, 2.0, -v23
	global_store_dwordx2 v[29:30], v[31:32], off
	global_store_dwordx2 v[37:38], v[27:28], off
	;; [unrolled: 1-line block ×7, first 2 shown]
.LBB0_15:
	s_endpgm
	.section	.rodata,"a",@progbits
	.p2align	6, 0x0
	.amdhsa_kernel fft_rtc_back_len4096_factors_16_16_16_wgs_256_tpt_256_halfLds_sp_op_CI_CI_unitstride_sbrr_dirReg
		.amdhsa_group_segment_fixed_size 0
		.amdhsa_private_segment_fixed_size 0
		.amdhsa_kernarg_size 104
		.amdhsa_user_sgpr_count 6
		.amdhsa_user_sgpr_private_segment_buffer 1
		.amdhsa_user_sgpr_dispatch_ptr 0
		.amdhsa_user_sgpr_queue_ptr 0
		.amdhsa_user_sgpr_kernarg_segment_ptr 1
		.amdhsa_user_sgpr_dispatch_id 0
		.amdhsa_user_sgpr_flat_scratch_init 0
		.amdhsa_user_sgpr_private_segment_size 0
		.amdhsa_wavefront_size32 1
		.amdhsa_uses_dynamic_stack 0
		.amdhsa_system_sgpr_private_segment_wavefront_offset 0
		.amdhsa_system_sgpr_workgroup_id_x 1
		.amdhsa_system_sgpr_workgroup_id_y 0
		.amdhsa_system_sgpr_workgroup_id_z 0
		.amdhsa_system_sgpr_workgroup_info 0
		.amdhsa_system_vgpr_workitem_id 0
		.amdhsa_next_free_vgpr 69
		.amdhsa_next_free_sgpr 27
		.amdhsa_reserve_vcc 1
		.amdhsa_reserve_flat_scratch 0
		.amdhsa_float_round_mode_32 0
		.amdhsa_float_round_mode_16_64 0
		.amdhsa_float_denorm_mode_32 3
		.amdhsa_float_denorm_mode_16_64 3
		.amdhsa_dx10_clamp 1
		.amdhsa_ieee_mode 1
		.amdhsa_fp16_overflow 0
		.amdhsa_workgroup_processor_mode 1
		.amdhsa_memory_ordered 1
		.amdhsa_forward_progress 0
		.amdhsa_shared_vgpr_count 0
		.amdhsa_exception_fp_ieee_invalid_op 0
		.amdhsa_exception_fp_denorm_src 0
		.amdhsa_exception_fp_ieee_div_zero 0
		.amdhsa_exception_fp_ieee_overflow 0
		.amdhsa_exception_fp_ieee_underflow 0
		.amdhsa_exception_fp_ieee_inexact 0
		.amdhsa_exception_int_div_zero 0
	.end_amdhsa_kernel
	.text
.Lfunc_end0:
	.size	fft_rtc_back_len4096_factors_16_16_16_wgs_256_tpt_256_halfLds_sp_op_CI_CI_unitstride_sbrr_dirReg, .Lfunc_end0-fft_rtc_back_len4096_factors_16_16_16_wgs_256_tpt_256_halfLds_sp_op_CI_CI_unitstride_sbrr_dirReg
                                        ; -- End function
	.section	.AMDGPU.csdata,"",@progbits
; Kernel info:
; codeLenInByte = 7068
; NumSgprs: 29
; NumVgprs: 69
; ScratchSize: 0
; MemoryBound: 0
; FloatMode: 240
; IeeeMode: 1
; LDSByteSize: 0 bytes/workgroup (compile time only)
; SGPRBlocks: 3
; VGPRBlocks: 8
; NumSGPRsForWavesPerEU: 29
; NumVGPRsForWavesPerEU: 69
; Occupancy: 12
; WaveLimiterHint : 1
; COMPUTE_PGM_RSRC2:SCRATCH_EN: 0
; COMPUTE_PGM_RSRC2:USER_SGPR: 6
; COMPUTE_PGM_RSRC2:TRAP_HANDLER: 0
; COMPUTE_PGM_RSRC2:TGID_X_EN: 1
; COMPUTE_PGM_RSRC2:TGID_Y_EN: 0
; COMPUTE_PGM_RSRC2:TGID_Z_EN: 0
; COMPUTE_PGM_RSRC2:TIDIG_COMP_CNT: 0
	.text
	.p2alignl 6, 3214868480
	.fill 48, 4, 3214868480
	.type	__hip_cuid_8bcd722b642eff3c,@object ; @__hip_cuid_8bcd722b642eff3c
	.section	.bss,"aw",@nobits
	.globl	__hip_cuid_8bcd722b642eff3c
__hip_cuid_8bcd722b642eff3c:
	.byte	0                               ; 0x0
	.size	__hip_cuid_8bcd722b642eff3c, 1

	.ident	"AMD clang version 19.0.0git (https://github.com/RadeonOpenCompute/llvm-project roc-6.4.0 25133 c7fe45cf4b819c5991fe208aaa96edf142730f1d)"
	.section	".note.GNU-stack","",@progbits
	.addrsig
	.addrsig_sym __hip_cuid_8bcd722b642eff3c
	.amdgpu_metadata
---
amdhsa.kernels:
  - .args:
      - .actual_access:  read_only
        .address_space:  global
        .offset:         0
        .size:           8
        .value_kind:     global_buffer
      - .offset:         8
        .size:           8
        .value_kind:     by_value
      - .actual_access:  read_only
        .address_space:  global
        .offset:         16
        .size:           8
        .value_kind:     global_buffer
      - .actual_access:  read_only
        .address_space:  global
        .offset:         24
        .size:           8
        .value_kind:     global_buffer
      - .actual_access:  read_only
        .address_space:  global
        .offset:         32
        .size:           8
        .value_kind:     global_buffer
      - .offset:         40
        .size:           8
        .value_kind:     by_value
      - .actual_access:  read_only
        .address_space:  global
        .offset:         48
        .size:           8
        .value_kind:     global_buffer
      - .actual_access:  read_only
        .address_space:  global
        .offset:         56
        .size:           8
        .value_kind:     global_buffer
      - .offset:         64
        .size:           4
        .value_kind:     by_value
      - .actual_access:  read_only
        .address_space:  global
        .offset:         72
        .size:           8
        .value_kind:     global_buffer
      - .actual_access:  read_only
        .address_space:  global
        .offset:         80
        .size:           8
        .value_kind:     global_buffer
      - .actual_access:  read_only
        .address_space:  global
        .offset:         88
        .size:           8
        .value_kind:     global_buffer
      - .actual_access:  write_only
        .address_space:  global
        .offset:         96
        .size:           8
        .value_kind:     global_buffer
    .group_segment_fixed_size: 0
    .kernarg_segment_align: 8
    .kernarg_segment_size: 104
    .language:       OpenCL C
    .language_version:
      - 2
      - 0
    .max_flat_workgroup_size: 256
    .name:           fft_rtc_back_len4096_factors_16_16_16_wgs_256_tpt_256_halfLds_sp_op_CI_CI_unitstride_sbrr_dirReg
    .private_segment_fixed_size: 0
    .sgpr_count:     29
    .sgpr_spill_count: 0
    .symbol:         fft_rtc_back_len4096_factors_16_16_16_wgs_256_tpt_256_halfLds_sp_op_CI_CI_unitstride_sbrr_dirReg.kd
    .uniform_work_group_size: 1
    .uses_dynamic_stack: false
    .vgpr_count:     69
    .vgpr_spill_count: 0
    .wavefront_size: 32
    .workgroup_processor_mode: 1
amdhsa.target:   amdgcn-amd-amdhsa--gfx1030
amdhsa.version:
  - 1
  - 2
...

	.end_amdgpu_metadata
